;; amdgpu-corpus repo=zjin-lcf/HeCBench kind=compiled arch=gfx950 opt=O3
	.amdgcn_target "amdgcn-amd-amdhsa--gfx950"
	.amdhsa_code_object_version 6
	.text
	.protected	_Z8SSSP_gpuPK4NodePK4EdgePiS5_PKiS5_S7_S5_S5_S5_S7_S5_ ; -- Begin function _Z8SSSP_gpuPK4NodePK4EdgePiS5_PKiS5_S7_S5_S5_S5_S7_S5_
	.globl	_Z8SSSP_gpuPK4NodePK4EdgePiS5_PKiS5_S7_S5_S5_S5_S7_S5_
	.p2align	8
	.type	_Z8SSSP_gpuPK4NodePK4EdgePiS5_PKiS5_S7_S5_S5_S5_S7_S5_,@function
_Z8SSSP_gpuPK4NodePK4EdgePiS5_PKiS5_S7_S5_S5_S5_S7_S5_: ; @_Z8SSSP_gpuPK4NodePK4EdgePiS5_PKiS5_S7_S5_S5_S5_S7_S5_
; %bb.0:
	s_load_dwordx8 s[12:19], s[0:1], 0x20
	s_load_dwordx8 s[4:11], s[0:1], 0x40
	s_load_dwordx8 s[20:27], s[0:1], 0x0
	s_load_dword s3, s[0:1], 0x6c
	v_cmp_eq_u32_e64 s[0:1], 0, v0
	s_waitcnt lgkmcnt(0)
	s_load_dword s33, s[16:17], 0x0
	s_load_dword s40, s[8:9], 0x0
	s_and_b32 s3, s3, 0xffff
	s_and_saveexec_b64 s[8:9], s[0:1]
	s_cbranch_execz .LBB0_4
; %bb.1:
	s_mov_b64 s[16:17], exec
	v_mbcnt_lo_u32_b32 v2, s16, 0
	v_mbcnt_hi_u32_b32 v2, s17, v2
	v_mov_b32_e32 v1, 0
	v_cmp_eq_u32_e32 vcc, 0, v2
	ds_write_b32 v1, v1 offset:6408
                                        ; implicit-def: $vgpr3
	s_and_saveexec_b64 s[28:29], vcc
	s_cbranch_execz .LBB0_3
; %bb.2:
	s_bcnt1_i32_b64 s16, s[16:17]
	s_mul_i32 s16, s3, s16
	v_mov_b32_e32 v3, s16
	global_atomic_add v3, v1, v3, s[18:19] sc0
.LBB0_3:
	s_or_b64 exec, exec, s[28:29]
	s_waitcnt vmcnt(0)
	v_readfirstlane_b32 s16, v3
	s_nop 1
	v_mov_b32_e32 v3, s16
	v_mad_u32_u24 v2, s3, v2, v3
	ds_write_b32 v1, v2 offset:6404
.LBB0_4:
	s_or_b64 exec, exec, s[8:9]
	v_mov_b32_e32 v8, 0
	s_waitcnt lgkmcnt(0)
	s_barrier
	ds_read_b32 v6, v8 offset:6404
	v_add_u32_e32 v1, 1, v0
	s_waitcnt lgkmcnt(0)
	v_cmp_le_i32_e32 vcc, s33, v6
	s_cbranch_vccnz .LBB0_47
; %bb.5:
	s_cmp_eq_u32 s3, 1
	s_cselect_b64 s[8:9], -1, 0
	s_lshl_b32 s16, s3, 2
	s_add_u32 s22, s22, 4
	v_lshlrev_b32_e32 v9, 2, v0
	s_mov_b32 s17, 0
	s_addc_u32 s23, s23, 0
	s_movk_i32 s41, 0x320
	v_mov_b32_e32 v10, 0xfe7965
	s_movk_i32 s42, 0x640
	v_mov_b32_e32 v11, 1
	s_branch .LBB0_8
.LBB0_6:                                ;   in Loop: Header=BB0_8 Depth=1
	s_or_b64 exec, exec, s[30:31]
	s_waitcnt vmcnt(0)
	v_readfirstlane_b32 s30, v3
	s_nop 1
	v_mov_b32_e32 v3, s30
	v_mad_u32_u24 v2, s3, v2, v3
	ds_write_b32 v8, v2 offset:6404
.LBB0_7:                                ;   in Loop: Header=BB0_8 Depth=1
	s_or_b64 exec, exec, s[28:29]
	s_waitcnt lgkmcnt(0)
	s_barrier
	ds_read_b32 v6, v8 offset:6404
	s_waitcnt lgkmcnt(0)
	v_cmp_gt_i32_e32 vcc, s33, v6
	s_cbranch_vccz .LBB0_47
.LBB0_8:                                ; =>This Loop Header: Depth=1
                                        ;     Child Loop BB0_17 Depth 2
                                        ;     Child Loop BB0_21 Depth 2
	;; [unrolled: 1-line block ×4, first 2 shown]
	ds_read_b32 v2, v8 offset:6408
	s_waitcnt lgkmcnt(0)
	v_cmp_gt_i32_e32 vcc, s41, v2
	s_cbranch_vccnz .LBB0_31
; %bb.9:                                ;   in Loop: Header=BB0_8 Depth=1
	s_and_saveexec_b64 s[28:29], s[0:1]
	s_cbranch_execz .LBB0_13
; %bb.10:                               ;   in Loop: Header=BB0_8 Depth=1
	s_mov_b64 s[34:35], exec
	v_mbcnt_lo_u32_b32 v3, s34, 0
	v_mbcnt_hi_u32_b32 v3, s35, v3
	v_cmp_eq_u32_e32 vcc, 0, v3
                                        ; implicit-def: $vgpr4
	s_and_saveexec_b64 s[30:31], vcc
	s_cbranch_execz .LBB0_12
; %bb.11:                               ;   in Loop: Header=BB0_8 Depth=1
	s_bcnt1_i32_b64 s34, s[34:35]
	v_mul_lo_u32 v4, v2, s34
	global_atomic_add v4, v8, v4, s[4:5] sc0
.LBB0_12:                               ;   in Loop: Header=BB0_8 Depth=1
	s_or_b64 exec, exec, s[30:31]
	s_waitcnt vmcnt(0)
	v_readfirstlane_b32 s30, v4
	v_mul_lo_u32 v2, v2, v3
	s_nop 0
	v_add_u32_e32 v2, s30, v2
	ds_write_b32 v8, v2 offset:6400
.LBB0_13:                               ;   in Loop: Header=BB0_8 Depth=1
	s_or_b64 exec, exec, s[28:29]
	s_waitcnt lgkmcnt(0)
	s_barrier
	ds_read_b32 v7, v8 offset:6408
	s_waitcnt lgkmcnt(0)
	v_cmp_lt_i32_e32 vcc, v0, v7
	s_and_saveexec_b64 s[28:29], vcc
	s_cbranch_execz .LBB0_28
; %bb.14:                               ;   in Loop: Header=BB0_8 Depth=1
	ds_read_b32 v2, v8 offset:6400
	v_max_i32_e32 v3, v7, v1
	v_sub_u32_e32 v3, v3, v0
	v_cmp_lt_u32_e32 vcc, 1, v3
	s_and_b64 s[36:37], vcc, s[8:9]
	s_mov_b64 s[34:35], -1
	v_mov_b32_e32 v4, v0
	v_mov_b32_e32 v12, v9
	s_and_saveexec_b64 s[30:31], s[36:37]
	s_cbranch_execz .LBB0_25
; %bb.15:                               ;   in Loop: Header=BB0_8 Depth=1
	v_add_u32_e32 v5, -2, v3
	v_lshrrev_b32_e32 v4, 1, v5
	v_add_u32_e32 v4, 1, v4
	v_cmp_lt_u32_e32 vcc, 13, v5
	v_mov_b32_e32 v14, 0
	s_and_saveexec_b64 s[34:35], vcc
	s_cbranch_execz .LBB0_19
; %bb.16:                               ;   in Loop: Header=BB0_8 Depth=1
	v_and_b32_e32 v5, -8, v4
	s_waitcnt lgkmcnt(0)
	v_add_u32_e32 v12, v0, v2
	s_mov_b32 s38, 0
	s_mov_b64 s[36:37], 0
	v_mov_b32_e32 v13, v9
.LBB0_17:                               ;   Parent Loop BB0_8 Depth=1
                                        ; =>  This Inner Loop Header: Depth=2
	ds_read2_b32 v[18:19], v13 offset1:1
	ds_read2_b32 v[20:21], v13 offset0:2 offset1:3
	ds_read2_b32 v[22:23], v13 offset0:4 offset1:5
	;; [unrolled: 1-line block ×7, first 2 shown]
	v_add_u32_e32 v16, s38, v12
	v_add_u32_e32 v5, -8, v5
	s_add_i32 s38, s38, 16
	v_ashrrev_i32_e32 v17, 31, v16
	v_add_u32_e32 v34, 2, v16
	v_add_u32_e32 v36, 4, v16
	;; [unrolled: 1-line block ×7, first 2 shown]
	v_cmp_eq_u32_e32 vcc, 0, v5
	v_add_u32_e32 v13, 64, v13
	v_mov_b32_e32 v14, s38
	v_lshl_add_u64 v[16:17], v[16:17], 2, s[14:15]
	v_ashrrev_i32_e32 v35, 31, v34
	v_ashrrev_i32_e32 v37, 31, v36
	;; [unrolled: 1-line block ×7, first 2 shown]
	s_or_b64 s[36:37], vcc, s[36:37]
	v_lshl_add_u64 v[34:35], v[34:35], 2, s[14:15]
	v_lshl_add_u64 v[36:37], v[36:37], 2, s[14:15]
	;; [unrolled: 1-line block ×7, first 2 shown]
	s_waitcnt lgkmcnt(7)
	global_store_dwordx2 v[16:17], v[18:19], off
	s_waitcnt lgkmcnt(6)
	global_store_dwordx2 v[34:35], v[20:21], off
	;; [unrolled: 2-line block ×8, first 2 shown]
	s_andn2_b64 exec, exec, s[36:37]
	s_cbranch_execnz .LBB0_17
; %bb.18:                               ;   in Loop: Header=BB0_8 Depth=1
	s_or_b64 exec, exec, s[36:37]
.LBB0_19:                               ;   in Loop: Header=BB0_8 Depth=1
	s_or_b64 exec, exec, s[34:35]
	v_and_b32_e32 v5, 7, v4
	v_cmp_ne_u32_e32 vcc, 0, v5
	s_and_saveexec_b64 s[34:35], vcc
	s_cbranch_execz .LBB0_22
; %bb.20:                               ;   in Loop: Header=BB0_8 Depth=1
	v_add_u32_e32 v12, v0, v14
	s_waitcnt lgkmcnt(0)
	v_add_u32_e32 v4, v12, v2
	v_lshlrev_b32_e32 v12, 2, v12
	v_lshlrev_b32_e32 v13, 2, v5
	s_mov_b64 s[36:37], 0
.LBB0_21:                               ;   Parent Loop BB0_8 Depth=1
                                        ; =>  This Inner Loop Header: Depth=2
	ds_read2_b32 v[14:15], v12 offset1:1
	v_add_u32_e32 v13, -4, v13
	v_ashrrev_i32_e32 v5, 31, v4
	v_cmp_eq_u32_e32 vcc, 0, v13
	v_add_u32_e32 v12, 8, v12
	v_lshl_add_u64 v[16:17], v[4:5], 2, s[14:15]
	v_add_u32_e32 v4, 2, v4
	s_or_b64 s[36:37], vcc, s[36:37]
	s_waitcnt lgkmcnt(0)
	global_store_dwordx2 v[16:17], v[14:15], off
	s_andn2_b64 exec, exec, s[36:37]
	s_cbranch_execnz .LBB0_21
.LBB0_22:                               ;   in Loop: Header=BB0_8 Depth=1
	s_or_b64 exec, exec, s[34:35]
	v_and_b32_e32 v5, -2, v3
	v_cmp_ne_u32_e32 vcc, v3, v5
	s_mov_b64 s[34:35], 0
                                        ; implicit-def: $vgpr4
                                        ; implicit-def: $vgpr12
	s_and_saveexec_b64 s[36:37], vcc
; %bb.23:                               ;   in Loop: Header=BB0_8 Depth=1
	v_add_u32_e32 v4, v0, v5
	s_mov_b64 s[34:35], exec
	v_lshlrev_b32_e32 v12, 2, v4
; %bb.24:                               ;   in Loop: Header=BB0_8 Depth=1
	s_or_b64 exec, exec, s[36:37]
	s_orn2_b64 s[34:35], s[34:35], exec
.LBB0_25:                               ;   in Loop: Header=BB0_8 Depth=1
	s_or_b64 exec, exec, s[30:31]
	s_and_b64 exec, exec, s[34:35]
	s_cbranch_execz .LBB0_28
; %bb.26:                               ;   in Loop: Header=BB0_8 Depth=1
	v_ashrrev_i32_e32 v5, 31, v4
	s_waitcnt lgkmcnt(0)
	v_ashrrev_i32_e32 v3, 31, v2
	v_lshl_add_u64 v[2:3], v[4:5], 0, v[2:3]
	v_lshl_add_u64 v[2:3], v[2:3], 2, s[14:15]
	s_mov_b64 s[30:31], 0
.LBB0_27:                               ;   Parent Loop BB0_8 Depth=1
                                        ; =>  This Inner Loop Header: Depth=2
	ds_read_b32 v5, v12
	v_add_u32_e32 v4, s3, v4
	v_cmp_ge_i32_e32 vcc, v4, v7
	v_add_u32_e32 v12, s16, v12
	s_or_b64 s[30:31], vcc, s[30:31]
	s_waitcnt lgkmcnt(0)
	global_store_dword v[2:3], v5, off
	v_lshl_add_u64 v[2:3], v[2:3], 0, s[16:17]
	s_andn2_b64 exec, exec, s[30:31]
	s_cbranch_execnz .LBB0_27
.LBB0_28:                               ;   in Loop: Header=BB0_8 Depth=1
	s_or_b64 exec, exec, s[28:29]
	s_waitcnt lgkmcnt(0)
	s_barrier
	s_and_saveexec_b64 s[28:29], s[0:1]
; %bb.29:                               ;   in Loop: Header=BB0_8 Depth=1
	ds_write_b32 v8, v8 offset:6408
; %bb.30:                               ;   in Loop: Header=BB0_8 Depth=1
	s_or_b64 exec, exec, s[28:29]
	s_waitcnt lgkmcnt(0)
	s_barrier
.LBB0_31:                               ;   in Loop: Header=BB0_8 Depth=1
	v_add_u32_e32 v2, v6, v0
	v_cmp_gt_i32_e32 vcc, s33, v2
	s_and_saveexec_b64 s[28:29], vcc
	s_cbranch_execz .LBB0_44
; %bb.32:                               ;   in Loop: Header=BB0_8 Depth=1
	global_load_dword v3, v8, s[6:7]
	s_waitcnt vmcnt(0)
	v_cmp_ne_u32_e32 vcc, 0, v3
	s_cbranch_vccnz .LBB0_44
; %bb.33:                               ;   in Loop: Header=BB0_8 Depth=1
	v_ashrrev_i32_e32 v3, 31, v2
	v_lshl_add_u64 v[2:3], v[2:3], 2, s[12:13]
	global_load_dword v4, v[2:3], off
	s_waitcnt vmcnt(0)
	v_ashrrev_i32_e32 v5, 31, v4
	v_lshl_add_u64 v[2:3], v[4:5], 2, s[26:27]
	global_atomic_swap v[2:3], v10, off
	v_lshl_add_u64 v[2:3], v[4:5], 3, s[20:21]
	global_load_dwordx2 v[2:3], v[2:3], off
	s_waitcnt vmcnt(0)
	v_cmp_lt_i32_e32 vcc, 0, v3
	s_and_b64 exec, exec, vcc
	s_cbranch_execz .LBB0_44
; %bb.34:                               ;   in Loop: Header=BB0_8 Depth=1
	v_lshl_add_u64 v[4:5], v[4:5], 2, s[24:25]
	global_load_dword v12, v[4:5], off
	v_add_u32_e32 v13, v3, v2
	v_ashrrev_i32_e32 v3, 31, v2
	v_lshl_add_u64 v[4:5], v[2:3], 3, s[22:23]
	s_mov_b64 s[30:31], 0
	s_branch .LBB0_36
.LBB0_35:                               ;   in Loop: Header=BB0_36 Depth=2
	s_or_b64 exec, exec, s[34:35]
	v_add_u32_e32 v2, 1, v2
	v_cmp_ge_i32_e32 vcc, v2, v13
	s_or_b64 s[30:31], vcc, s[30:31]
	v_lshl_add_u64 v[4:5], v[4:5], 0, 8
	s_andn2_b64 exec, exec, s[30:31]
	s_cbranch_execz .LBB0_44
.LBB0_36:                               ;   Parent Loop BB0_8 Depth=1
                                        ; =>  This Inner Loop Header: Depth=2
	global_load_dwordx2 v[6:7], v[4:5], off offset:-4
	s_waitcnt vmcnt(0)
	v_add_u32_e32 v3, v7, v12
	v_ashrrev_i32_e32 v7, 31, v6
	v_lshl_add_u64 v[14:15], v[6:7], 2, s[24:25]
	global_atomic_smax v14, v[14:15], v3, off sc0
	s_waitcnt vmcnt(0)
	v_cmp_lt_i32_e32 vcc, v14, v3
	s_and_saveexec_b64 s[34:35], vcc
	s_cbranch_execz .LBB0_35
; %bb.37:                               ;   in Loop: Header=BB0_36 Depth=2
	v_lshl_add_u64 v[14:15], v[6:7], 2, s[26:27]
	v_mov_b32_e32 v3, s40
	global_atomic_smax v3, v[14:15], v3, off sc0
	s_waitcnt vmcnt(0)
	v_cmp_ne_u32_e32 vcc, s40, v3
	s_and_b64 exec, exec, vcc
	s_cbranch_execz .LBB0_35
; %bb.38:                               ;   in Loop: Header=BB0_36 Depth=2
	s_mov_b64 s[38:39], exec
	v_mbcnt_lo_u32_b32 v3, s38, 0
	v_mbcnt_hi_u32_b32 v3, s39, v3
	v_cmp_eq_u32_e32 vcc, 0, v3
                                        ; implicit-def: $vgpr7
	s_and_saveexec_b64 s[36:37], vcc
; %bb.39:                               ;   in Loop: Header=BB0_36 Depth=2
	s_bcnt1_i32_b64 s38, s[38:39]
	v_mov_b32_e32 v7, s38
	ds_add_rtn_u32 v7, v8, v7 offset:6408
; %bb.40:                               ;   in Loop: Header=BB0_36 Depth=2
	s_or_b64 exec, exec, s[36:37]
	s_waitcnt lgkmcnt(0)
	v_readfirstlane_b32 s36, v7
	s_nop 1
	v_add_u32_e32 v3, s36, v3
	v_cmp_gt_i32_e32 vcc, s42, v3
	s_and_saveexec_b64 s[36:37], vcc
	s_xor_b64 s[36:37], exec, s[36:37]
; %bb.41:                               ;   in Loop: Header=BB0_36 Depth=2
	v_lshlrev_b32_e32 v3, 2, v3
	ds_write_b32 v3, v6
; %bb.42:                               ;   in Loop: Header=BB0_36 Depth=2
	s_andn2_saveexec_b64 s[36:37], s[36:37]
	s_cbranch_execz .LBB0_35
; %bb.43:                               ;   in Loop: Header=BB0_36 Depth=2
	global_store_dword v8, v11, s[6:7]
	s_branch .LBB0_35
.LBB0_44:                               ;   in Loop: Header=BB0_8 Depth=1
	s_or_b64 exec, exec, s[28:29]
	s_and_saveexec_b64 s[28:29], s[0:1]
	s_cbranch_execz .LBB0_7
; %bb.45:                               ;   in Loop: Header=BB0_8 Depth=1
	s_mov_b64 s[34:35], exec
	v_mbcnt_lo_u32_b32 v2, s34, 0
	v_mbcnt_hi_u32_b32 v2, s35, v2
	v_cmp_eq_u32_e32 vcc, 0, v2
                                        ; implicit-def: $vgpr3
	s_and_saveexec_b64 s[30:31], vcc
	s_cbranch_execz .LBB0_6
; %bb.46:                               ;   in Loop: Header=BB0_8 Depth=1
	s_bcnt1_i32_b64 s34, s[34:35]
	s_mul_i32 s34, s3, s34
	v_mov_b32_e32 v3, s34
	global_atomic_add v3, v8, v3, s[18:19] sc0
	s_branch .LBB0_6
.LBB0_47:
	s_and_saveexec_b64 s[6:7], s[0:1]
	s_cbranch_execz .LBB0_51
; %bb.48:
	v_mov_b32_e32 v2, 0
	ds_read_b32 v3, v2 offset:6408
	s_mov_b64 s[0:1], exec
	v_mbcnt_lo_u32_b32 v4, s0, 0
	v_mbcnt_hi_u32_b32 v4, s1, v4
	v_cmp_eq_u32_e32 vcc, 0, v4
                                        ; implicit-def: $vgpr5
	s_and_saveexec_b64 s[8:9], vcc
	s_cbranch_execz .LBB0_50
; %bb.49:
	s_bcnt1_i32_b64 s0, s[0:1]
	s_waitcnt lgkmcnt(0)
	v_mul_lo_u32 v5, v3, s0
	global_atomic_add v5, v2, v5, s[4:5] sc0
.LBB0_50:
	s_or_b64 exec, exec, s[8:9]
	s_waitcnt vmcnt(0)
	v_readfirstlane_b32 s0, v5
	s_waitcnt lgkmcnt(0)
	v_mul_lo_u32 v3, v3, v4
	v_add_u32_e32 v3, s0, v3
	ds_write_b32 v2, v3 offset:6400
.LBB0_51:
	s_or_b64 exec, exec, s[6:7]
	v_mov_b32_e32 v2, 0
	s_waitcnt lgkmcnt(0)
	s_barrier
	ds_read_b32 v6, v2 offset:6408
	s_waitcnt lgkmcnt(0)
	v_cmp_lt_i32_e32 vcc, v0, v6
	s_and_saveexec_b64 s[0:1], vcc
	s_cbranch_execz .LBB0_64
; %bb.52:
	ds_read_b32 v2, v2 offset:6400
	v_max_i32_e32 v1, v6, v1
	s_and_b32 s4, s3, 0xffff
	v_sub_u32_e32 v1, v1, v0
	s_cmp_eq_u32 s4, 1
	v_cmp_lt_u32_e32 vcc, 1, v1
	s_cselect_b64 s[4:5], -1, 0
	s_and_b64 s[8:9], vcc, s[4:5]
	s_mov_b64 s[6:7], -1
	v_mov_b32_e32 v4, v0
	s_and_saveexec_b64 s[4:5], s[8:9]
	s_cbranch_execz .LBB0_61
; %bb.53:
	v_add_u32_e32 v4, -2, v1
	v_lshrrev_b32_e32 v3, 1, v4
	v_add_u32_e32 v3, 1, v3
	v_cmp_lt_u32_e32 vcc, 13, v4
	v_mov_b32_e32 v8, 0
	s_and_saveexec_b64 s[6:7], vcc
	s_cbranch_execz .LBB0_57
; %bb.54:
	v_and_b32_e32 v4, -8, v3
	s_waitcnt lgkmcnt(0)
	v_add_u32_e32 v5, v0, v2
	v_lshlrev_b32_e32 v7, 2, v0
	s_mov_b32 s12, 0
	s_mov_b64 s[8:9], 0
.LBB0_55:                               ; =>This Inner Loop Header: Depth=1
	ds_read2_b32 v[12:13], v7 offset1:1
	ds_read2_b32 v[14:15], v7 offset0:2 offset1:3
	ds_read2_b32 v[16:17], v7 offset0:4 offset1:5
	;; [unrolled: 1-line block ×7, first 2 shown]
	v_add_u32_e32 v10, s12, v5
	v_add_u32_e32 v4, -8, v4
	s_add_i32 s12, s12, 16
	v_ashrrev_i32_e32 v11, 31, v10
	v_add_u32_e32 v28, 2, v10
	v_add_u32_e32 v30, 4, v10
	;; [unrolled: 1-line block ×7, first 2 shown]
	v_cmp_eq_u32_e32 vcc, 0, v4
	v_add_u32_e32 v7, 64, v7
	v_mov_b32_e32 v8, s12
	v_lshl_add_u64 v[10:11], v[10:11], 2, s[14:15]
	v_ashrrev_i32_e32 v29, 31, v28
	v_ashrrev_i32_e32 v31, 31, v30
	;; [unrolled: 1-line block ×7, first 2 shown]
	s_or_b64 s[8:9], vcc, s[8:9]
	v_lshl_add_u64 v[28:29], v[28:29], 2, s[14:15]
	v_lshl_add_u64 v[30:31], v[30:31], 2, s[14:15]
	;; [unrolled: 1-line block ×7, first 2 shown]
	s_waitcnt lgkmcnt(7)
	global_store_dwordx2 v[10:11], v[12:13], off
	s_waitcnt lgkmcnt(6)
	global_store_dwordx2 v[28:29], v[14:15], off
	;; [unrolled: 2-line block ×8, first 2 shown]
	s_andn2_b64 exec, exec, s[8:9]
	s_cbranch_execnz .LBB0_55
; %bb.56:
	s_or_b64 exec, exec, s[8:9]
.LBB0_57:
	s_or_b64 exec, exec, s[6:7]
	v_and_b32_e32 v5, 7, v3
	v_cmp_ne_u32_e32 vcc, 0, v5
	s_and_saveexec_b64 s[6:7], vcc
	s_cbranch_execz .LBB0_60
; %bb.58:
	v_add_u32_e32 v3, v0, v8
	s_waitcnt lgkmcnt(0)
	v_add_u32_e32 v4, v3, v2
	v_lshlrev_b32_e32 v3, 2, v3
	v_lshlrev_b32_e32 v7, 2, v5
	s_mov_b64 s[8:9], 0
.LBB0_59:                               ; =>This Inner Loop Header: Depth=1
	ds_read2_b32 v[8:9], v3 offset1:1
	v_add_u32_e32 v7, -4, v7
	v_ashrrev_i32_e32 v5, 31, v4
	v_cmp_eq_u32_e32 vcc, 0, v7
	v_add_u32_e32 v3, 8, v3
	v_lshl_add_u64 v[10:11], v[4:5], 2, s[14:15]
	v_add_u32_e32 v4, 2, v4
	s_or_b64 s[8:9], vcc, s[8:9]
	s_waitcnt lgkmcnt(0)
	global_store_dwordx2 v[10:11], v[8:9], off
	s_andn2_b64 exec, exec, s[8:9]
	s_cbranch_execnz .LBB0_59
.LBB0_60:
	s_or_b64 exec, exec, s[6:7]
	v_and_b32_e32 v3, -2, v1
	v_cmp_ne_u32_e32 vcc, v1, v3
	v_add_u32_e32 v4, v0, v3
	s_orn2_b64 s[6:7], vcc, exec
.LBB0_61:
	s_or_b64 exec, exec, s[4:5]
	s_and_b64 exec, exec, s[6:7]
	s_cbranch_execz .LBB0_64
; %bb.62:
	v_ashrrev_i32_e32 v5, 31, v4
	s_waitcnt lgkmcnt(0)
	v_ashrrev_i32_e32 v3, 31, v2
	v_lshl_add_u64 v[2:3], v[4:5], 0, v[2:3]
	v_lshl_add_u64 v[2:3], v[2:3], 2, s[14:15]
	s_mov_b32 s5, 0
	s_lshl_b32 s4, s3, 2
	v_lshlrev_b32_e32 v1, 2, v4
	s_mov_b64 s[6:7], 0
.LBB0_63:                               ; =>This Inner Loop Header: Depth=1
	ds_read_b32 v5, v1
	v_add_u32_e32 v4, s3, v4
	v_cmp_ge_i32_e32 vcc, v4, v6
	v_add_u32_e32 v1, s4, v1
	s_or_b64 s[6:7], vcc, s[6:7]
	s_waitcnt lgkmcnt(0)
	global_store_dword v[2:3], v5, off
	v_lshl_add_u64 v[2:3], v[2:3], 0, s[4:5]
	s_andn2_b64 exec, exec, s[6:7]
	s_cbranch_execnz .LBB0_63
.LBB0_64:
	s_or_b64 exec, exec, s[0:1]
	s_mul_i32 s2, s2, s3
	v_sub_u32_e32 v0, 0, v0
	v_cmp_eq_u32_e32 vcc, s2, v0
	s_and_saveexec_b64 s[0:1], vcc
	s_cbranch_execz .LBB0_67
; %bb.65:
	s_mov_b64 s[0:1], exec
	v_mbcnt_lo_u32_b32 v0, s0, 0
	v_mbcnt_hi_u32_b32 v0, s1, v0
	v_cmp_eq_u32_e32 vcc, 0, v0
	s_and_b64 s[2:3], exec, vcc
	s_mov_b64 exec, s[2:3]
	s_cbranch_execz .LBB0_67
; %bb.66:
	s_bcnt1_i32_b64 s0, s[0:1]
	v_mov_b32_e32 v0, 0
	v_mov_b32_e32 v1, s0
	global_atomic_add v0, v1, s[10:11]
.LBB0_67:
	s_endpgm
	.section	.rodata,"a",@progbits
	.p2align	6, 0x0
	.amdhsa_kernel _Z8SSSP_gpuPK4NodePK4EdgePiS5_PKiS5_S7_S5_S5_S5_S7_S5_
		.amdhsa_group_segment_fixed_size 6412
		.amdhsa_private_segment_fixed_size 0
		.amdhsa_kernarg_size 352
		.amdhsa_user_sgpr_count 2
		.amdhsa_user_sgpr_dispatch_ptr 0
		.amdhsa_user_sgpr_queue_ptr 0
		.amdhsa_user_sgpr_kernarg_segment_ptr 1
		.amdhsa_user_sgpr_dispatch_id 0
		.amdhsa_user_sgpr_kernarg_preload_length 0
		.amdhsa_user_sgpr_kernarg_preload_offset 0
		.amdhsa_user_sgpr_private_segment_size 0
		.amdhsa_uses_dynamic_stack 0
		.amdhsa_enable_private_segment 0
		.amdhsa_system_sgpr_workgroup_id_x 1
		.amdhsa_system_sgpr_workgroup_id_y 0
		.amdhsa_system_sgpr_workgroup_id_z 0
		.amdhsa_system_sgpr_workgroup_info 0
		.amdhsa_system_vgpr_workitem_id 0
		.amdhsa_next_free_vgpr 48
		.amdhsa_next_free_sgpr 43
		.amdhsa_accum_offset 48
		.amdhsa_reserve_vcc 1
		.amdhsa_float_round_mode_32 0
		.amdhsa_float_round_mode_16_64 0
		.amdhsa_float_denorm_mode_32 3
		.amdhsa_float_denorm_mode_16_64 3
		.amdhsa_dx10_clamp 1
		.amdhsa_ieee_mode 1
		.amdhsa_fp16_overflow 0
		.amdhsa_tg_split 0
		.amdhsa_exception_fp_ieee_invalid_op 0
		.amdhsa_exception_fp_denorm_src 0
		.amdhsa_exception_fp_ieee_div_zero 0
		.amdhsa_exception_fp_ieee_overflow 0
		.amdhsa_exception_fp_ieee_underflow 0
		.amdhsa_exception_fp_ieee_inexact 0
		.amdhsa_exception_int_div_zero 0
	.end_amdhsa_kernel
	.text
.Lfunc_end0:
	.size	_Z8SSSP_gpuPK4NodePK4EdgePiS5_PKiS5_S7_S5_S5_S5_S7_S5_, .Lfunc_end0-_Z8SSSP_gpuPK4NodePK4EdgePiS5_PKiS5_S7_S5_S5_S5_S7_S5_
                                        ; -- End function
	.set _Z8SSSP_gpuPK4NodePK4EdgePiS5_PKiS5_S7_S5_S5_S5_S7_S5_.num_vgpr, 48
	.set _Z8SSSP_gpuPK4NodePK4EdgePiS5_PKiS5_S7_S5_S5_S5_S7_S5_.num_agpr, 0
	.set _Z8SSSP_gpuPK4NodePK4EdgePiS5_PKiS5_S7_S5_S5_S5_S7_S5_.numbered_sgpr, 43
	.set _Z8SSSP_gpuPK4NodePK4EdgePiS5_PKiS5_S7_S5_S5_S5_S7_S5_.num_named_barrier, 0
	.set _Z8SSSP_gpuPK4NodePK4EdgePiS5_PKiS5_S7_S5_S5_S5_S7_S5_.private_seg_size, 0
	.set _Z8SSSP_gpuPK4NodePK4EdgePiS5_PKiS5_S7_S5_S5_S5_S7_S5_.uses_vcc, 1
	.set _Z8SSSP_gpuPK4NodePK4EdgePiS5_PKiS5_S7_S5_S5_S5_S7_S5_.uses_flat_scratch, 0
	.set _Z8SSSP_gpuPK4NodePK4EdgePiS5_PKiS5_S7_S5_S5_S5_S7_S5_.has_dyn_sized_stack, 0
	.set _Z8SSSP_gpuPK4NodePK4EdgePiS5_PKiS5_S7_S5_S5_S5_S7_S5_.has_recursion, 0
	.set _Z8SSSP_gpuPK4NodePK4EdgePiS5_PKiS5_S7_S5_S5_S5_S7_S5_.has_indirect_call, 0
	.section	.AMDGPU.csdata,"",@progbits
; Kernel info:
; codeLenInByte = 2532
; TotalNumSgprs: 49
; NumVgprs: 48
; NumAgprs: 0
; TotalNumVgprs: 48
; ScratchSize: 0
; MemoryBound: 0
; FloatMode: 240
; IeeeMode: 1
; LDSByteSize: 6412 bytes/workgroup (compile time only)
; SGPRBlocks: 6
; VGPRBlocks: 5
; NumSGPRsForWavesPerEU: 49
; NumVGPRsForWavesPerEU: 48
; AccumOffset: 48
; Occupancy: 8
; WaveLimiterHint : 1
; COMPUTE_PGM_RSRC2:SCRATCH_EN: 0
; COMPUTE_PGM_RSRC2:USER_SGPR: 2
; COMPUTE_PGM_RSRC2:TRAP_HANDLER: 0
; COMPUTE_PGM_RSRC2:TGID_X_EN: 1
; COMPUTE_PGM_RSRC2:TGID_Y_EN: 0
; COMPUTE_PGM_RSRC2:TGID_Z_EN: 0
; COMPUTE_PGM_RSRC2:TIDIG_COMP_CNT: 0
; COMPUTE_PGM_RSRC3_GFX90A:ACCUM_OFFSET: 11
; COMPUTE_PGM_RSRC3_GFX90A:TG_SPLIT: 0
	.text
	.p2alignl 6, 3212836864
	.fill 256, 4, 3212836864
	.section	.AMDGPU.gpr_maximums,"",@progbits
	.set amdgpu.max_num_vgpr, 0
	.set amdgpu.max_num_agpr, 0
	.set amdgpu.max_num_sgpr, 0
	.text
	.type	__hip_cuid_9680e8500859b2c3,@object ; @__hip_cuid_9680e8500859b2c3
	.section	.bss,"aw",@nobits
	.globl	__hip_cuid_9680e8500859b2c3
__hip_cuid_9680e8500859b2c3:
	.byte	0                               ; 0x0
	.size	__hip_cuid_9680e8500859b2c3, 1

	.ident	"AMD clang version 22.0.0git (https://github.com/RadeonOpenCompute/llvm-project roc-7.2.4 26084 f58b06dce1f9c15707c5f808fd002e18c2accf7e)"
	.section	".note.GNU-stack","",@progbits
	.addrsig
	.addrsig_sym __hip_cuid_9680e8500859b2c3
	.amdgpu_metadata
---
amdhsa.kernels:
  - .agpr_count:     0
    .args:
      - .actual_access:  read_only
        .address_space:  global
        .offset:         0
        .size:           8
        .value_kind:     global_buffer
      - .actual_access:  read_only
        .address_space:  global
        .offset:         8
        .size:           8
        .value_kind:     global_buffer
      - .address_space:  global
        .offset:         16
        .size:           8
        .value_kind:     global_buffer
      - .address_space:  global
        .offset:         24
        .size:           8
        .value_kind:     global_buffer
      - .actual_access:  read_only
        .address_space:  global
        .offset:         32
        .size:           8
        .value_kind:     global_buffer
      - .actual_access:  write_only
        .address_space:  global
        .offset:         40
        .size:           8
        .value_kind:     global_buffer
      - .actual_access:  read_only
        .address_space:  global
        .offset:         48
        .size:           8
        .value_kind:     global_buffer
      - .address_space:  global
        .offset:         56
        .size:           8
        .value_kind:     global_buffer
      - .address_space:  global
        .offset:         64
        .size:           8
        .value_kind:     global_buffer
      - .address_space:  global
        .offset:         72
        .size:           8
        .value_kind:     global_buffer
      - .actual_access:  read_only
        .address_space:  global
        .offset:         80
        .size:           8
        .value_kind:     global_buffer
      - .address_space:  global
        .offset:         88
        .size:           8
        .value_kind:     global_buffer
      - .offset:         96
        .size:           4
        .value_kind:     hidden_block_count_x
      - .offset:         100
        .size:           4
        .value_kind:     hidden_block_count_y
      - .offset:         104
        .size:           4
        .value_kind:     hidden_block_count_z
      - .offset:         108
        .size:           2
        .value_kind:     hidden_group_size_x
      - .offset:         110
        .size:           2
        .value_kind:     hidden_group_size_y
      - .offset:         112
        .size:           2
        .value_kind:     hidden_group_size_z
      - .offset:         114
        .size:           2
        .value_kind:     hidden_remainder_x
      - .offset:         116
        .size:           2
        .value_kind:     hidden_remainder_y
      - .offset:         118
        .size:           2
        .value_kind:     hidden_remainder_z
      - .offset:         136
        .size:           8
        .value_kind:     hidden_global_offset_x
      - .offset:         144
        .size:           8
        .value_kind:     hidden_global_offset_y
      - .offset:         152
        .size:           8
        .value_kind:     hidden_global_offset_z
      - .offset:         160
        .size:           2
        .value_kind:     hidden_grid_dims
    .group_segment_fixed_size: 6412
    .kernarg_segment_align: 8
    .kernarg_segment_size: 352
    .language:       OpenCL C
    .language_version:
      - 2
      - 0
    .max_flat_workgroup_size: 1024
    .name:           _Z8SSSP_gpuPK4NodePK4EdgePiS5_PKiS5_S7_S5_S5_S5_S7_S5_
    .private_segment_fixed_size: 0
    .sgpr_count:     49
    .sgpr_spill_count: 0
    .symbol:         _Z8SSSP_gpuPK4NodePK4EdgePiS5_PKiS5_S7_S5_S5_S5_S7_S5_.kd
    .uniform_work_group_size: 1
    .uses_dynamic_stack: false
    .vgpr_count:     48
    .vgpr_spill_count: 0
    .wavefront_size: 64
amdhsa.target:   amdgcn-amd-amdhsa--gfx950
amdhsa.version:
  - 1
  - 2
...

	.end_amdgpu_metadata
